;; amdgpu-corpus repo=ROCm/rocFFT kind=compiled arch=gfx1030 opt=O3
	.text
	.amdgcn_target "amdgcn-amd-amdhsa--gfx1030"
	.amdhsa_code_object_version 6
	.protected	bluestein_single_back_len896_dim1_sp_op_CI_CI ; -- Begin function bluestein_single_back_len896_dim1_sp_op_CI_CI
	.globl	bluestein_single_back_len896_dim1_sp_op_CI_CI
	.p2align	8
	.type	bluestein_single_back_len896_dim1_sp_op_CI_CI,@function
bluestein_single_back_len896_dim1_sp_op_CI_CI: ; @bluestein_single_back_len896_dim1_sp_op_CI_CI
; %bb.0:
	s_load_dwordx4 s[12:15], s[4:5], 0x28
	v_mul_u32_u24_e32 v1, 0x24a, v0
	v_mov_b32_e32 v49, 0
	s_mov_b32 s0, exec_lo
	v_lshrrev_b32_e32 v1, 16, v1
	v_add_nc_u32_e32 v48, s6, v1
	s_waitcnt lgkmcnt(0)
	v_cmpx_gt_u64_e64 s[12:13], v[48:49]
	s_cbranch_execz .LBB0_10
; %bb.1:
	s_clause 0x1
	s_load_dwordx4 s[8:11], s[4:5], 0x18
	s_load_dwordx4 s[0:3], s[4:5], 0x0
	v_mul_lo_u16 v1, 0x70, v1
	s_load_dwordx2 s[4:5], s[4:5], 0x38
                                        ; implicit-def: $vgpr85
	v_sub_nc_u16 v0, v0, v1
	v_and_b32_e32 v89, 0xffff, v0
	v_lshlrev_b32_e32 v90, 3, v89
	v_and_b32_e32 v27, 1, v89
	v_lshlrev_b32_e32 v92, 4, v89
	s_waitcnt lgkmcnt(0)
	s_load_dwordx4 s[16:19], s[8:9], 0x0
	s_clause 0x2
	global_load_dwordx2 v[49:50], v90, s[0:1]
	global_load_dwordx2 v[53:54], v90, s[0:1] offset:896
	global_load_dwordx2 v[51:52], v90, s[0:1] offset:1792
	v_add_co_u32 v11, s6, s0, v90
	v_add_co_ci_u32_e64 v12, null, s1, 0, s6
	v_lshlrev_b32_e32 v28, 3, v27
	v_add_co_u32 v5, vcc_lo, 0x800, v11
	v_add_co_ci_u32_e32 v6, vcc_lo, 0, v12, vcc_lo
	v_add_co_u32 v7, vcc_lo, 0x1000, v11
	v_add_co_ci_u32_e32 v8, vcc_lo, 0, v12, vcc_lo
	s_clause 0x2
	global_load_dwordx2 v[63:64], v[5:6], off offset:1536
	global_load_dwordx2 v[61:62], v[7:8], off offset:384
	global_load_dwordx2 v[55:56], v[7:8], off offset:1280
	v_add_nc_u32_e32 v119, 0xe0, v89
	s_waitcnt lgkmcnt(0)
	v_mad_u64_u32 v[1:2], null, s18, v48, 0
	v_mad_u64_u32 v[3:4], null, s16, v89, 0
	s_mul_i32 s6, s17, 0xe00
	s_mul_hi_u32 s7, s16, 0xe00
	s_mul_i32 s8, s16, 0xe00
	s_add_i32 s7, s7, s6
	s_mul_hi_u32 s12, s16, 0xfffff580
	s_mul_i32 s9, s17, 0xfffff580
	v_mad_u64_u32 v[9:10], null, s19, v48, v[2:3]
	v_add_co_u32 v10, vcc_lo, 0x1800, v11
	v_add_co_ci_u32_e32 v11, vcc_lo, 0, v12, vcc_lo
	v_mad_u64_u32 v[12:13], null, s17, v89, v[4:5]
	v_mov_b32_e32 v2, v9
	s_mul_i32 s13, s16, 0xfffff580
	s_sub_i32 s6, s12, s16
	v_add_nc_u32_e32 v120, 0x150, v89
	s_add_i32 s6, s6, s9
	v_lshlrev_b64 v[1:2], 3, v[1:2]
	v_mov_b32_e32 v4, v12
	v_lshlrev_b64 v[3:4], 3, v[3:4]
	v_add_co_u32 v1, vcc_lo, s14, v1
	v_add_co_ci_u32_e32 v2, vcc_lo, s15, v2, vcc_lo
	v_add_co_u32 v1, vcc_lo, v1, v3
	v_add_co_ci_u32_e32 v2, vcc_lo, v2, v4, vcc_lo
	;; [unrolled: 2-line block ×3, first 2 shown]
	global_load_dwordx2 v[12:13], v[1:2], off
	v_add_co_u32 v7, vcc_lo, v3, s13
	global_load_dwordx2 v[14:15], v[3:4], off
	v_add_co_ci_u32_e32 v8, vcc_lo, s6, v4, vcc_lo
	v_add_co_u32 v1, vcc_lo, v7, s8
	v_add_co_ci_u32_e32 v2, vcc_lo, s7, v8, vcc_lo
	v_add_co_u32 v3, vcc_lo, v1, s13
	s_clause 0x1
	global_load_dwordx2 v[7:8], v[7:8], off
	global_load_dwordx2 v[16:17], v[1:2], off
	v_add_co_ci_u32_e32 v4, vcc_lo, s6, v2, vcc_lo
	v_add_co_u32 v1, vcc_lo, v3, s8
	v_add_co_ci_u32_e32 v2, vcc_lo, s7, v4, vcc_lo
	global_load_dwordx2 v[18:19], v[3:4], off
	v_add_co_u32 v3, vcc_lo, v1, s13
	v_add_co_ci_u32_e32 v4, vcc_lo, s6, v2, vcc_lo
	global_load_dwordx2 v[20:21], v[1:2], off
	v_add_co_u32 v1, vcc_lo, v3, s8
	v_add_co_ci_u32_e32 v2, vcc_lo, s7, v4, vcc_lo
	global_load_dwordx2 v[57:58], v[5:6], off offset:640
	global_load_dwordx2 v[5:6], v[3:4], off
	global_load_dwordx2 v[59:60], v[10:11], off offset:128
	global_load_dwordx2 v[9:10], v[1:2], off
	v_add_nc_u32_e32 v4, 0xc00, v90
	v_add_nc_u32_e32 v1, 0x1000, v90
	;; [unrolled: 1-line block ×4, first 2 shown]
	s_load_dwordx4 s[8:11], s[10:11], 0x0
	v_cmp_gt_u16_e32 vcc_lo, 16, v0
	s_waitcnt vmcnt(9)
	v_mul_f32_e32 v11, v13, v50
	v_mul_f32_e32 v23, v12, v50
	s_waitcnt vmcnt(8)
	v_mul_f32_e32 v25, v14, v64
	v_mul_f32_e32 v22, v15, v64
	v_fmac_f32_e32 v11, v12, v49
	v_fma_f32 v12, v13, v49, -v23
	v_fma_f32 v23, v15, v63, -v25
	v_fmac_f32_e32 v22, v14, v63
	s_waitcnt vmcnt(7)
	v_mul_f32_e32 v24, v8, v54
	v_mul_f32_e32 v13, v7, v54
	v_fmac_f32_e32 v24, v7, v53
	s_waitcnt vmcnt(6)
	v_mul_f32_e32 v7, v17, v62
	v_fma_f32 v25, v8, v53, -v13
	v_mul_f32_e32 v8, v16, v62
	s_waitcnt vmcnt(5)
	v_mul_f32_e32 v13, v19, v52
	v_mul_f32_e32 v14, v18, v52
	v_fmac_f32_e32 v7, v16, v61
	v_fma_f32 v8, v17, v61, -v8
	s_waitcnt vmcnt(4)
	v_mul_f32_e32 v15, v21, v56
	v_mul_f32_e32 v16, v20, v56
	v_fmac_f32_e32 v13, v18, v51
	s_waitcnt vmcnt(2)
	v_mul_f32_e32 v17, v6, v58
	v_mul_f32_e32 v18, v5, v58
	v_fma_f32 v14, v19, v51, -v14
	v_fmac_f32_e32 v15, v20, v55
	s_waitcnt vmcnt(0)
	v_mul_f32_e32 v19, v10, v60
	v_mul_f32_e32 v20, v9, v60
	v_fma_f32 v16, v21, v55, -v16
	v_fmac_f32_e32 v17, v5, v57
	v_fma_f32 v18, v6, v57, -v18
	v_fmac_f32_e32 v19, v9, v59
	v_fma_f32 v20, v10, v59, -v20
	ds_write_b64 v90, v[22:23] offset:3584
	ds_write2_b64 v90, v[11:12], v[24:25] offset1:112
	ds_write2_b64 v1, v[7:8], v[15:16] offset0:48 offset1:160
	ds_write2_b64 v2, v[13:14], v[17:18] offset0:96 offset1:208
	ds_write_b64 v90, v[19:20] offset:6272
	s_waitcnt lgkmcnt(0)
	s_barrier
	buffer_gl0_inv
	ds_read2_b64 v[5:8], v90 offset1:112
	ds_read2_b64 v[9:12], v4 offset0:64 offset1:176
	ds_read2_b64 v[13:16], v2 offset0:96 offset1:208
	;; [unrolled: 1-line block ×3, first 2 shown]
	v_add_co_u32 v1, null, 0x70, v89
	s_waitcnt lgkmcnt(0)
	s_barrier
	buffer_gl0_inv
	v_lshlrev_b32_e32 v91, 4, v1
	v_sub_f32_e32 v21, v5, v9
	v_sub_f32_e32 v22, v6, v10
	;; [unrolled: 1-line block ×8, first 2 shown]
	v_fma_f32 v19, v5, 2.0, -v21
	v_fma_f32 v20, v6, 2.0, -v22
	;; [unrolled: 1-line block ×8, first 2 shown]
	ds_write_b128 v92, v[19:22]
	ds_write_b128 v91, v[7:10]
	ds_write_b128 v92, v[23:26] offset:3584
	ds_write_b128 v92, v[15:18] offset:5376
	s_waitcnt lgkmcnt(0)
	s_barrier
	buffer_gl0_inv
	global_load_dwordx2 v[65:66], v28, s[2:3]
	ds_read2_b64 v[9:12], v4 offset0:64 offset1:176
	v_lshlrev_b32_e32 v6, 1, v89
	v_lshlrev_b32_e32 v5, 1, v1
	v_lshlrev_b32_e32 v8, 1, v119
	v_lshlrev_b32_e32 v7, 1, v120
	ds_read2_b64 v[13:16], v3 offset0:32 offset1:144
	v_and_or_b32 v17, 0xfc, v6, v27
	v_and_or_b32 v18, 0x1fc, v5, v27
	v_and_or_b32 v19, 0x3fc, v8, v27
	v_and_or_b32 v20, 0x3fc, v7, v27
	v_and_b32_e32 v25, 3, v89
	v_lshlrev_b32_e32 v96, 3, v17
	v_lshlrev_b32_e32 v95, 3, v18
	v_lshlrev_b32_e32 v94, 3, v19
	v_lshlrev_b32_e32 v93, 3, v20
	ds_read2_b64 v[17:20], v90 offset1:112
	ds_read2_b64 v[21:24], v2 offset0:96 offset1:208
	v_lshlrev_b32_e32 v26, 3, v25
	s_waitcnt vmcnt(0) lgkmcnt(0)
	s_barrier
	buffer_gl0_inv
	v_mul_f32_e32 v27, v10, v66
	v_mul_f32_e32 v28, v9, v66
	v_mul_f32_e32 v29, v12, v66
	v_mul_f32_e32 v30, v11, v66
	v_mul_f32_e32 v31, v14, v66
	v_mul_f32_e32 v32, v13, v66
	v_mul_f32_e32 v33, v16, v66
	v_mul_f32_e32 v34, v15, v66
	v_fma_f32 v9, v9, v65, -v27
	v_fmac_f32_e32 v28, v10, v65
	v_fma_f32 v11, v11, v65, -v29
	v_fmac_f32_e32 v30, v12, v65
	v_fma_f32 v13, v13, v65, -v31
	v_fmac_f32_e32 v32, v14, v65
	v_fma_f32 v15, v15, v65, -v33
	v_fmac_f32_e32 v34, v16, v65
	v_sub_f32_e32 v9, v17, v9
	v_sub_f32_e32 v10, v18, v28
	v_sub_f32_e32 v11, v19, v11
	v_sub_f32_e32 v12, v20, v30
	v_sub_f32_e32 v13, v21, v13
	v_sub_f32_e32 v14, v22, v32
	v_sub_f32_e32 v15, v23, v15
	v_sub_f32_e32 v16, v24, v34
	v_fma_f32 v17, v17, 2.0, -v9
	v_fma_f32 v18, v18, 2.0, -v10
	v_fma_f32 v19, v19, 2.0, -v11
	v_fma_f32 v20, v20, 2.0, -v12
	v_fma_f32 v21, v21, 2.0, -v13
	v_fma_f32 v22, v22, 2.0, -v14
	v_fma_f32 v23, v23, 2.0, -v15
	v_fma_f32 v24, v24, 2.0, -v16
	ds_write2_b64 v96, v[17:18], v[9:10] offset1:2
	ds_write2_b64 v95, v[19:20], v[11:12] offset1:2
	ds_write2_b64 v94, v[21:22], v[13:14] offset1:2
	ds_write2_b64 v93, v[23:24], v[15:16] offset1:2
	s_waitcnt lgkmcnt(0)
	s_barrier
	buffer_gl0_inv
	global_load_dwordx2 v[67:68], v26, s[2:3] offset:16
	ds_read2_b64 v[9:12], v4 offset0:64 offset1:176
	ds_read2_b64 v[13:16], v3 offset0:32 offset1:144
	v_and_or_b32 v17, 0xf8, v6, v25
	v_and_or_b32 v18, 0x1f8, v5, v25
	v_and_or_b32 v19, 0x3f8, v8, v25
	v_and_or_b32 v20, 0x3f8, v7, v25
	v_and_b32_e32 v26, 7, v89
	v_lshlrev_b32_e32 v100, 3, v17
	v_lshlrev_b32_e32 v99, 3, v18
	v_lshlrev_b32_e32 v98, 3, v19
	v_lshlrev_b32_e32 v97, 3, v20
	ds_read2_b64 v[17:20], v90 offset1:112
	ds_read2_b64 v[21:24], v2 offset0:96 offset1:208
	v_lshlrev_b32_e32 v25, 3, v26
	s_waitcnt vmcnt(0) lgkmcnt(0)
	s_barrier
	buffer_gl0_inv
	v_mul_f32_e32 v27, v10, v68
	v_mul_f32_e32 v28, v9, v68
	v_mul_f32_e32 v29, v12, v68
	v_mul_f32_e32 v30, v11, v68
	v_mul_f32_e32 v31, v14, v68
	v_mul_f32_e32 v32, v13, v68
	v_mul_f32_e32 v33, v16, v68
	v_mul_f32_e32 v34, v15, v68
	v_fma_f32 v9, v9, v67, -v27
	v_fmac_f32_e32 v28, v10, v67
	v_fma_f32 v11, v11, v67, -v29
	v_fmac_f32_e32 v30, v12, v67
	v_fma_f32 v13, v13, v67, -v31
	v_fmac_f32_e32 v32, v14, v67
	v_fma_f32 v15, v15, v67, -v33
	v_fmac_f32_e32 v34, v16, v67
	v_sub_f32_e32 v9, v17, v9
	v_sub_f32_e32 v10, v18, v28
	v_sub_f32_e32 v11, v19, v11
	v_sub_f32_e32 v12, v20, v30
	v_sub_f32_e32 v13, v21, v13
	v_sub_f32_e32 v14, v22, v32
	v_sub_f32_e32 v15, v23, v15
	v_sub_f32_e32 v16, v24, v34
	v_fma_f32 v17, v17, 2.0, -v9
	v_fma_f32 v18, v18, 2.0, -v10
	v_fma_f32 v19, v19, 2.0, -v11
	v_fma_f32 v20, v20, 2.0, -v12
	v_fma_f32 v21, v21, 2.0, -v13
	v_fma_f32 v22, v22, 2.0, -v14
	v_fma_f32 v23, v23, 2.0, -v15
	v_fma_f32 v24, v24, 2.0, -v16
	ds_write2_b64 v100, v[17:18], v[9:10] offset1:4
	ds_write2_b64 v99, v[19:20], v[11:12] offset1:4
	ds_write2_b64 v98, v[21:22], v[13:14] offset1:4
	ds_write2_b64 v97, v[23:24], v[15:16] offset1:4
	s_waitcnt lgkmcnt(0)
	s_barrier
	buffer_gl0_inv
	global_load_dwordx2 v[69:70], v25, s[2:3] offset:48
	ds_read2_b64 v[9:12], v4 offset0:64 offset1:176
	;; [unrolled: 57-line block ×3, first 2 shown]
	ds_read2_b64 v[13:16], v3 offset0:32 offset1:144
	v_and_or_b32 v17, 0xe0, v6, v25
	v_and_or_b32 v18, 0x1e0, v5, v25
	;; [unrolled: 1-line block ×4, first 2 shown]
	v_and_b32_e32 v29, 31, v120
	v_lshlrev_b32_e32 v110, 3, v17
	v_lshlrev_b32_e32 v109, 3, v18
	v_lshlrev_b32_e32 v108, 3, v19
	v_lshlrev_b32_e32 v107, 3, v20
	ds_read2_b64 v[17:20], v90 offset1:112
	ds_read2_b64 v[21:24], v2 offset0:96 offset1:208
	v_and_b32_e32 v26, 31, v89
	v_and_b32_e32 v27, 31, v1
	v_lshlrev_b32_e32 v25, 3, v29
	s_waitcnt vmcnt(0) lgkmcnt(0)
	s_barrier
	v_lshlrev_b32_e32 v28, 3, v26
	buffer_gl0_inv
	v_mul_f32_e32 v30, v10, v72
	v_mul_f32_e32 v31, v9, v72
	;; [unrolled: 1-line block ×8, first 2 shown]
	v_fma_f32 v9, v9, v71, -v30
	v_fmac_f32_e32 v31, v10, v71
	v_fma_f32 v11, v11, v71, -v32
	v_fmac_f32_e32 v33, v12, v71
	;; [unrolled: 2-line block ×4, first 2 shown]
	v_sub_f32_e32 v9, v17, v9
	v_sub_f32_e32 v10, v18, v31
	v_sub_f32_e32 v11, v19, v11
	v_sub_f32_e32 v12, v20, v33
	v_sub_f32_e32 v13, v21, v13
	v_sub_f32_e32 v14, v22, v35
	v_sub_f32_e32 v15, v23, v15
	v_sub_f32_e32 v16, v24, v37
	v_fma_f32 v17, v17, 2.0, -v9
	v_fma_f32 v18, v18, 2.0, -v10
	v_fma_f32 v19, v19, 2.0, -v11
	v_fma_f32 v20, v20, 2.0, -v12
	v_fma_f32 v21, v21, 2.0, -v13
	v_fma_f32 v22, v22, 2.0, -v14
	v_fma_f32 v23, v23, 2.0, -v15
	v_fma_f32 v24, v24, 2.0, -v16
	ds_write2_b64 v110, v[17:18], v[9:10] offset1:16
	ds_write2_b64 v109, v[19:20], v[11:12] offset1:16
	;; [unrolled: 1-line block ×4, first 2 shown]
	s_waitcnt lgkmcnt(0)
	s_barrier
	buffer_gl0_inv
	s_clause 0x1
	global_load_dwordx2 v[73:74], v25, s[2:3] offset:240
	global_load_dwordx2 v[75:76], v28, s[2:3] offset:240
	v_lshlrev_b32_e32 v9, 3, v27
	s_clause 0x1
	global_load_dword v106, v25, s[2:3] offset:244
	global_load_dword v105, v9, s[2:3] offset:240
	ds_read2_b64 v[9:12], v4 offset0:64 offset1:176
	v_and_or_b32 v17, 0xc0, v6, v26
	ds_read2_b64 v[13:16], v3 offset0:32 offset1:144
	v_and_or_b32 v18, 0x3c0, v8, v26
	v_and_or_b32 v19, 0x3c0, v7, v29
	v_and_b32_e32 v25, 63, v89
	v_lshlrev_b32_e32 v113, 3, v17
	v_and_or_b32 v17, 0x1c0, v5, v27
	v_lshlrev_b32_e32 v112, 3, v18
	v_lshlrev_b32_e32 v111, 3, v19
	v_and_b32_e32 v30, 63, v1
	v_and_b32_e32 v31, 63, v119
	v_lshlrev_b32_e32 v114, 3, v17
	ds_read2_b64 v[17:20], v90 offset1:112
	ds_read2_b64 v[21:24], v2 offset0:96 offset1:208
	v_lshlrev_b32_e32 v28, 3, v25
	v_and_b32_e32 v32, 63, v120
	v_lshlrev_b32_e32 v26, 3, v30
	v_lshlrev_b32_e32 v27, 3, v31
	s_waitcnt vmcnt(0) lgkmcnt(0)
	s_barrier
	buffer_gl0_inv
	v_mul_f32_e32 v34, v12, v74
	v_mul_f32_e32 v29, v10, v76
	;; [unrolled: 1-line block ×8, first 2 shown]
	v_fma_f32 v9, v9, v75, -v29
	v_fmac_f32_e32 v33, v10, v75
	v_fma_f32 v11, v11, v105, -v34
	v_fmac_f32_e32 v35, v12, v105
	;; [unrolled: 2-line block ×4, first 2 shown]
	v_sub_f32_e32 v9, v17, v9
	v_sub_f32_e32 v10, v18, v33
	;; [unrolled: 1-line block ×8, first 2 shown]
	v_fma_f32 v17, v17, 2.0, -v9
	v_fma_f32 v18, v18, 2.0, -v10
	;; [unrolled: 1-line block ×8, first 2 shown]
	ds_write2_b64 v113, v[17:18], v[9:10] offset1:32
	ds_write2_b64 v114, v[19:20], v[11:12] offset1:32
	;; [unrolled: 1-line block ×4, first 2 shown]
	s_waitcnt lgkmcnt(0)
	s_barrier
	buffer_gl0_inv
	global_load_dwordx2 v[81:82], v28, s[2:3] offset:496
	v_lshlrev_b32_e32 v9, 3, v32
	s_clause 0x2
	global_load_dwordx2 v[83:84], v26, s[2:3] offset:496
	global_load_dwordx2 v[79:80], v27, s[2:3] offset:496
	;; [unrolled: 1-line block ×3, first 2 shown]
	ds_read2_b64 v[9:12], v4 offset0:64 offset1:176
	ds_read2_b64 v[13:16], v3 offset0:32 offset1:144
	v_and_or_b32 v3, 0x80, v6, v25
	v_and_or_b32 v4, 0x180, v5, v30
	;; [unrolled: 1-line block ×4, first 2 shown]
                                        ; implicit-def: $vgpr34
                                        ; implicit-def: $vgpr38
	v_lshlrev_b32_e32 v118, 3, v3
	v_lshlrev_b32_e32 v117, 3, v4
	v_lshlrev_b32_e32 v116, 3, v5
	v_lshlrev_b32_e32 v115, 3, v6
	ds_read2_b64 v[3:6], v90 offset1:112
	ds_read2_b64 v[17:20], v2 offset0:96 offset1:208
	s_waitcnt vmcnt(0) lgkmcnt(0)
	s_barrier
	buffer_gl0_inv
	v_mul_f32_e32 v2, v10, v82
	v_mul_f32_e32 v8, v9, v82
	;; [unrolled: 1-line block ×8, first 2 shown]
	v_fma_f32 v2, v9, v81, -v2
	v_fmac_f32_e32 v8, v10, v81
	v_fma_f32 v9, v11, v83, -v7
	v_fmac_f32_e32 v21, v12, v83
	;; [unrolled: 2-line block ×4, first 2 shown]
	v_sub_f32_e32 v7, v3, v2
	v_sub_f32_e32 v8, v4, v8
	;; [unrolled: 1-line block ×8, first 2 shown]
	v_fma_f32 v2, v3, 2.0, -v7
	v_fma_f32 v3, v4, 2.0, -v8
	;; [unrolled: 1-line block ×8, first 2 shown]
	ds_write2st64_b64 v118, v[2:3], v[7:8] offset1:1
	ds_write2st64_b64 v117, v[4:5], v[9:10] offset1:1
	;; [unrolled: 1-line block ×4, first 2 shown]
	s_waitcnt lgkmcnt(0)
	s_barrier
	buffer_gl0_inv
	ds_read_b64 v[87:88], v90 offset:6144
	ds_read2st64_b64 v[28:31], v90 offset1:2
	ds_read2st64_b64 v[44:47], v90 offset0:4 offset1:6
	ds_read2st64_b64 v[40:43], v90 offset0:8 offset1:10
	s_and_saveexec_b32 s6, vcc_lo
	s_cbranch_execz .LBB0_3
; %bb.2:
	v_add_nc_u32_e32 v0, 0x180, v90
	ds_read2_b64 v[24:27], v90 offset0:112 offset1:240
	ds_read2st64_b64 v[32:35], v0 offset0:5 offset1:7
	ds_read2st64_b64 v[36:39], v0 offset0:9 offset1:11
	ds_read_b64 v[85:86], v90 offset:7040
.LBB0_3:
	s_or_b32 exec_lo, exec_lo, s6
	v_mad_u64_u32 v[2:3], null, v89, 48, s[2:3]
	v_and_b32_e32 v0, 0x7f, v1
	v_lshlrev_b32_e32 v121, 4, v119
	v_lshlrev_b32_e32 v119, 4, v120
	s_clause 0x2
	global_load_dwordx4 v[20:23], v[2:3], off offset:1008
	global_load_dwordx4 v[16:19], v[2:3], off offset:1024
	;; [unrolled: 1-line block ×3, first 2 shown]
	v_mad_u64_u32 v[8:9], null, v0, 48, s[2:3]
	s_clause 0x2
	global_load_dwordx4 v[4:7], v[8:9], off offset:1008
	global_load_dwordx4 v[0:3], v[8:9], off offset:1024
	;; [unrolled: 1-line block ×3, first 2 shown]
	s_waitcnt vmcnt(5) lgkmcnt(2)
	v_mul_f32_e32 v120, v31, v21
	v_mul_f32_e32 v122, v30, v21
	s_waitcnt lgkmcnt(1)
	v_mul_f32_e32 v123, v45, v23
	v_mul_f32_e32 v124, v44, v23
	s_waitcnt vmcnt(4)
	v_mul_f32_e32 v125, v47, v17
	v_mul_f32_e32 v126, v46, v17
	s_waitcnt lgkmcnt(0)
	v_mul_f32_e32 v127, v41, v19
	v_mul_f32_e32 v128, v40, v19
	s_waitcnt vmcnt(3)
	v_mul_f32_e32 v129, v43, v13
	v_mul_f32_e32 v130, v42, v13
	;; [unrolled: 1-line block ×4, first 2 shown]
	v_fma_f32 v30, v30, v20, -v120
	v_fmac_f32_e32 v122, v31, v20
	v_fma_f32 v31, v44, v22, -v123
	v_fmac_f32_e32 v124, v45, v22
	;; [unrolled: 2-line block ×6, first 2 shown]
	s_waitcnt vmcnt(2)
	v_mul_f32_e32 v43, v27, v5
	v_mul_f32_e32 v45, v26, v5
	v_mul_f32_e32 v46, v33, v7
	v_mul_f32_e32 v47, v32, v7
	s_waitcnt vmcnt(1)
	v_mul_f32_e32 v87, v35, v1
	v_mul_f32_e32 v88, v34, v1
	v_mul_f32_e32 v120, v37, v3
	v_mul_f32_e32 v123, v36, v3
	s_waitcnt vmcnt(0)
	v_mul_f32_e32 v125, v39, v9
	v_mul_f32_e32 v127, v38, v9
	v_mul_f32_e32 v129, v86, v11
	v_mul_f32_e32 v131, v85, v11
	v_fma_f32 v26, v26, v4, -v43
	v_fmac_f32_e32 v45, v27, v4
	v_fma_f32 v27, v32, v6, -v46
	v_fmac_f32_e32 v47, v33, v6
	;; [unrolled: 2-line block ×6, first 2 shown]
	v_add_f32_e32 v36, v30, v42
	v_add_f32_e32 v37, v122, v132
	v_sub_f32_e32 v30, v30, v42
	v_add_f32_e32 v39, v31, v41
	v_add_f32_e32 v42, v124, v130
	v_sub_f32_e32 v31, v31, v41
	v_sub_f32_e32 v41, v124, v130
	v_add_f32_e32 v43, v44, v40
	v_add_f32_e32 v46, v126, v128
	v_sub_f32_e32 v40, v40, v44
	v_sub_f32_e32 v44, v128, v126
	;; [unrolled: 1-line block ×3, first 2 shown]
	v_add_f32_e32 v85, v39, v36
	v_add_f32_e32 v86, v42, v37
	v_sub_f32_e32 v87, v39, v36
	v_sub_f32_e32 v120, v42, v37
	;; [unrolled: 1-line block ×6, first 2 shown]
	v_add_f32_e32 v122, v40, v31
	v_add_f32_e32 v124, v44, v41
	v_sub_f32_e32 v125, v40, v31
	v_sub_f32_e32 v126, v44, v41
	;; [unrolled: 1-line block ×3, first 2 shown]
	v_add_f32_e32 v128, v26, v35
	v_add_f32_e32 v129, v45, v131
	v_sub_f32_e32 v26, v26, v35
	v_sub_f32_e32 v35, v45, v131
	v_add_f32_e32 v45, v27, v34
	v_add_f32_e32 v130, v47, v127
	v_sub_f32_e32 v40, v30, v40
	v_sub_f32_e32 v44, v38, v44
	v_sub_f32_e32 v41, v41, v38
	v_sub_f32_e32 v27, v27, v34
	v_sub_f32_e32 v34, v47, v127
	v_add_f32_e32 v47, v32, v33
	v_add_f32_e32 v127, v88, v123
	v_sub_f32_e32 v32, v33, v32
	v_sub_f32_e32 v33, v123, v88
	v_add_f32_e32 v43, v43, v85
	v_add_f32_e32 v46, v46, v86
	v_add_f32_e32 v30, v122, v30
	v_add_f32_e32 v38, v124, v38
	v_mul_f32_e32 v85, 0x3f4a47b2, v36
	v_mul_f32_e32 v86, 0x3f4a47b2, v37
	;; [unrolled: 1-line block ×7, first 2 shown]
	v_add_f32_e32 v131, v45, v128
	v_add_f32_e32 v132, v130, v129
	v_mul_f32_e32 v126, 0x3f5ff5aa, v41
	v_sub_f32_e32 v133, v45, v128
	v_sub_f32_e32 v134, v130, v129
	;; [unrolled: 1-line block ×6, first 2 shown]
	v_add_f32_e32 v135, v32, v27
	v_add_f32_e32 v136, v33, v34
	v_sub_f32_e32 v137, v32, v27
	v_sub_f32_e32 v138, v33, v34
	;; [unrolled: 1-line block ×4, first 2 shown]
	v_add_f32_e32 v36, v28, v43
	v_add_f32_e32 v37, v29, v46
	v_fmamk_f32 v28, v39, 0x3d64c772, v85
	v_fmamk_f32 v29, v42, 0x3d64c772, v86
	v_fma_f32 v39, 0x3f3bfb3b, v87, -v88
	v_fma_f32 v42, 0x3f3bfb3b, v120, -v122
	;; [unrolled: 1-line block ×3, first 2 shown]
	v_fmamk_f32 v88, v40, 0x3eae86e6, v123
	v_fma_f32 v120, 0x3f5ff5aa, v41, -v124
	v_fma_f32 v122, 0xbeae86e6, v40, -v125
	v_add_f32_e32 v40, v47, v131
	v_add_f32_e32 v41, v127, v132
	v_sub_f32_e32 v32, v26, v32
	v_sub_f32_e32 v33, v35, v33
	v_fma_f32 v85, 0xbf3bfb3b, v87, -v85
	v_fmamk_f32 v87, v44, 0x3eae86e6, v124
	v_fma_f32 v31, 0x3f5ff5aa, v31, -v123
	v_fma_f32 v123, 0xbeae86e6, v44, -v126
	v_mul_f32_e32 v44, 0x3f4a47b2, v128
	v_mul_f32_e32 v47, 0x3f4a47b2, v129
	;; [unrolled: 1-line block ×8, first 2 shown]
	v_fmamk_f32 v43, v43, 0xbf955555, v36
	v_fmamk_f32 v46, v46, 0xbf955555, v37
	v_add_f32_e32 v24, v24, v40
	v_add_f32_e32 v25, v25, v41
	;; [unrolled: 1-line block ×4, first 2 shown]
	v_fmac_f32_e32 v88, 0x3ee1c552, v30
	v_fmac_f32_e32 v31, 0x3ee1c552, v30
	;; [unrolled: 1-line block ×5, first 2 shown]
	v_fmamk_f32 v30, v45, 0x3d64c772, v44
	v_fmamk_f32 v130, v130, 0x3d64c772, v47
	v_fma_f32 v124, 0x3f3bfb3b, v133, -v124
	v_fma_f32 v125, 0x3f3bfb3b, v134, -v125
	;; [unrolled: 1-line block ×4, first 2 shown]
	v_fmamk_f32 v133, v32, 0x3eae86e6, v126
	v_fmamk_f32 v134, v33, 0x3eae86e6, v127
	v_fma_f32 v126, 0x3f5ff5aa, v27, -v126
	v_fma_f32 v34, 0x3f5ff5aa, v34, -v127
	;; [unrolled: 1-line block ×4, first 2 shown]
	v_add_f32_e32 v27, v28, v43
	v_add_f32_e32 v28, v29, v46
	;; [unrolled: 1-line block ×6, first 2 shown]
	v_fmamk_f32 v85, v40, 0xbf955555, v24
	v_fmamk_f32 v86, v41, 0xbf955555, v25
	v_fmac_f32_e32 v87, 0x3ee1c552, v38
	v_fmac_f32_e32 v133, 0x3ee1c552, v26
	;; [unrolled: 1-line block ×7, first 2 shown]
	v_add_f32_e32 v40, v123, v33
	v_sub_f32_e32 v41, v47, v122
	v_sub_f32_e32 v42, v29, v120
	v_add_f32_e32 v43, v31, v32
	v_add_f32_e32 v44, v120, v29
	v_sub_f32_e32 v45, v32, v31
	v_sub_f32_e32 v46, v33, v123
	v_add_f32_e32 v47, v122, v47
	v_add_f32_e32 v120, v30, v85
	;; [unrolled: 1-line block ×8, first 2 shown]
	v_sub_f32_e32 v39, v28, v88
	v_sub_f32_e32 v87, v27, v87
	v_add_f32_e32 v88, v88, v28
	v_add_f32_e32 v26, v134, v120
	v_sub_f32_e32 v27, v122, v133
	v_add_f32_e32 v28, v128, v35
	v_sub_f32_e32 v29, v85, v127
	v_sub_f32_e32 v30, v32, v34
	v_add_f32_e32 v31, v126, v33
	v_add_f32_e32 v32, v34, v32
	v_sub_f32_e32 v33, v33, v126
	v_sub_f32_e32 v34, v35, v128
	v_add_f32_e32 v35, v127, v85
	v_sub_f32_e32 v85, v120, v134
	v_add_f32_e32 v86, v133, v122
	ds_write2st64_b64 v90, v[36:37], v[38:39] offset1:2
	ds_write2st64_b64 v90, v[40:41], v[42:43] offset0:4 offset1:6
	ds_write2st64_b64 v90, v[44:45], v[46:47] offset0:8 offset1:10
	ds_write_b64 v90, v[87:88] offset:6144
	s_and_saveexec_b32 s2, vcc_lo
	s_cbranch_execz .LBB0_5
; %bb.4:
	v_add_nc_u32_e32 v36, 0x180, v90
	ds_write2_b64 v90, v[24:25], v[26:27] offset0:112 offset1:240
	ds_write2st64_b64 v36, v[28:29], v[30:31] offset0:5 offset1:7
	ds_write2st64_b64 v36, v[32:33], v[34:35] offset0:9 offset1:11
	ds_write_b64 v90, v[85:86] offset:7040
.LBB0_5:
	s_or_b32 exec_lo, exec_lo, s2
	v_lshlrev_b32_e32 v24, 3, v89
	s_waitcnt lgkmcnt(0)
	s_barrier
	buffer_gl0_inv
	v_add_nc_u32_e32 v120, 0x1000, v90
	v_add_co_u32 v42, s0, s0, v24
	v_add_co_ci_u32_e64 v43, null, s1, 0, s0
	v_add_nc_u32_e32 v140, 0x800, v90
	v_add_co_u32 v24, s0, 0x1800, v42
	v_add_co_ci_u32_e64 v25, s0, 0, v43, s0
	v_add_co_u32 v36, s0, 0x1c00, v42
	v_add_co_ci_u32_e64 v37, s0, 0, v43, s0
	global_load_dwordx2 v[24:25], v[24:25], off offset:1024
	v_add_co_u32 v38, s0, 0x2800, v42
	global_load_dwordx2 v[87:88], v[36:37], off offset:896
	v_add_co_ci_u32_e64 v39, s0, 0, v43, s0
	v_add_co_u32 v40, s0, 0x3000, v42
	v_add_co_ci_u32_e64 v41, s0, 0, v43, s0
	s_clause 0x1
	global_load_dwordx2 v[126:127], v[38:39], off offset:512
	global_load_dwordx2 v[128:129], v[38:39], off offset:1408
	v_add_co_u32 v38, s0, 0x2000, v42
	v_add_co_ci_u32_e64 v39, s0, 0, v43, s0
	s_clause 0x3
	global_load_dwordx2 v[130:131], v[36:37], off offset:1792
	global_load_dwordx2 v[132:133], v[40:41], off offset:256
	;; [unrolled: 1-line block ×4, first 2 shown]
	ds_read2_b64 v[36:39], v90 offset1:112
	s_waitcnt vmcnt(7) lgkmcnt(0)
	v_mul_f32_e32 v40, v37, v25
	v_mul_f32_e32 v41, v36, v25
	v_add_nc_u32_e32 v25, 0x1400, v90
	s_waitcnt vmcnt(6)
	v_mul_f32_e32 v139, v38, v88
	v_fma_f32 v40, v36, v24, -v40
	v_fmac_f32_e32 v41, v37, v24
	v_add_nc_u32_e32 v36, 0xc00, v90
	v_add_nc_u32_e32 v24, 0x400, v90
	v_mul_f32_e32 v37, v39, v88
	v_fmac_f32_e32 v139, v39, v87
	ds_write_b64 v90, v[40:41]
	ds_read2_b64 v[40:43], v36 offset0:64 offset1:176
	ds_read2_b64 v[44:47], v24 offset0:96 offset1:208
	;; [unrolled: 1-line block ×3, first 2 shown]
	v_fma_f32 v138, v38, v87, -v37
	s_waitcnt vmcnt(3) lgkmcnt(1)
	v_mul_f32_e32 v141, v45, v131
	v_mul_f32_e32 v37, v41, v127
	;; [unrolled: 1-line block ×6, first 2 shown]
	s_waitcnt vmcnt(2) lgkmcnt(0)
	v_mul_f32_e32 v142, v123, v133
	v_mul_f32_e32 v129, v122, v133
	s_waitcnt vmcnt(1)
	v_mul_f32_e32 v143, v47, v135
	v_mul_f32_e32 v131, v46, v135
	s_waitcnt vmcnt(0)
	v_mul_f32_e32 v135, v125, v137
	v_mul_f32_e32 v133, v124, v137
	v_fma_f32 v37, v40, v126, -v37
	v_fmac_f32_e32 v38, v41, v126
	v_fma_f32 v126, v44, v130, -v141
	v_fmac_f32_e32 v127, v45, v130
	;; [unrolled: 2-line block ×6, first 2 shown]
	ds_write2_b64 v90, v[138:139], v[126:127] offset0:112 offset1:224
	ds_write2_b64 v120, v[87:88], v[128:129] offset0:48 offset1:160
	ds_write2_b64 v140, v[130:131], v[37:38] offset0:80 offset1:192
	ds_write_b64 v90, v[132:133] offset:6272
	s_waitcnt lgkmcnt(0)
	s_barrier
	buffer_gl0_inv
	ds_read2_b64 v[37:40], v90 offset1:112
	ds_read2_b64 v[41:44], v36 offset0:64 offset1:176
	ds_read2_b64 v[122:125], v24 offset0:96 offset1:208
	;; [unrolled: 1-line block ×3, first 2 shown]
	s_waitcnt lgkmcnt(0)
	s_barrier
	buffer_gl0_inv
	v_sub_f32_e32 v45, v37, v41
	v_sub_f32_e32 v46, v38, v42
	;; [unrolled: 1-line block ×8, first 2 shown]
	v_fma_f32 v43, v37, 2.0, -v45
	v_fma_f32 v44, v38, 2.0, -v46
	;; [unrolled: 1-line block ×8, first 2 shown]
	ds_write_b128 v92, v[43:46]
	ds_write_b128 v91, v[39:42]
	;; [unrolled: 1-line block ×4, first 2 shown]
	s_waitcnt lgkmcnt(0)
	s_barrier
	buffer_gl0_inv
	ds_read2_b64 v[37:40], v36 offset0:64 offset1:176
	ds_read2_b64 v[41:44], v25 offset0:32 offset1:144
	ds_read2_b64 v[119:122], v90 offset1:112
	ds_read2_b64 v[123:126], v24 offset0:96 offset1:208
	s_waitcnt lgkmcnt(0)
	s_barrier
	buffer_gl0_inv
	v_mul_f32_e32 v45, v66, v38
	v_mul_f32_e32 v46, v66, v37
	v_mul_f32_e32 v47, v66, v40
	v_mul_f32_e32 v87, v66, v39
	v_mul_f32_e32 v88, v66, v42
	v_mul_f32_e32 v91, v66, v41
	v_mul_f32_e32 v92, v66, v44
	v_mul_f32_e32 v66, v66, v43
	v_fmac_f32_e32 v45, v65, v37
	v_fma_f32 v38, v65, v38, -v46
	v_fmac_f32_e32 v47, v65, v39
	v_fma_f32 v40, v65, v40, -v87
	v_fmac_f32_e32 v88, v65, v41
	v_fma_f32 v42, v65, v42, -v91
	v_fmac_f32_e32 v92, v65, v43
	v_fma_f32 v44, v65, v44, -v66
	v_sub_f32_e32 v37, v119, v45
	v_sub_f32_e32 v38, v120, v38
	v_sub_f32_e32 v39, v121, v47
	v_sub_f32_e32 v40, v122, v40
	v_sub_f32_e32 v41, v123, v88
	v_sub_f32_e32 v42, v124, v42
	v_sub_f32_e32 v43, v125, v92
	v_sub_f32_e32 v44, v126, v44
	v_fma_f32 v45, v119, 2.0, -v37
	v_fma_f32 v46, v120, 2.0, -v38
	v_fma_f32 v65, v121, 2.0, -v39
	v_fma_f32 v66, v122, 2.0, -v40
	v_fma_f32 v87, v123, 2.0, -v41
	v_fma_f32 v88, v124, 2.0, -v42
	v_fma_f32 v91, v125, 2.0, -v43
	v_fma_f32 v92, v126, 2.0, -v44
	ds_write2_b64 v96, v[45:46], v[37:38] offset1:2
	ds_write2_b64 v95, v[65:66], v[39:40] offset1:2
	ds_write2_b64 v94, v[87:88], v[41:42] offset1:2
	ds_write2_b64 v93, v[91:92], v[43:44] offset1:2
	s_waitcnt lgkmcnt(0)
	s_barrier
	buffer_gl0_inv
	ds_read2_b64 v[37:40], v36 offset0:64 offset1:176
	ds_read2_b64 v[41:44], v25 offset0:32 offset1:144
	ds_read2_b64 v[91:94], v90 offset1:112
	ds_read2_b64 v[119:122], v24 offset0:96 offset1:208
	s_waitcnt lgkmcnt(0)
	s_barrier
	buffer_gl0_inv
	v_mul_f32_e32 v45, v68, v38
	v_mul_f32_e32 v46, v68, v37
	v_mul_f32_e32 v47, v68, v40
	v_mul_f32_e32 v65, v68, v39
	v_mul_f32_e32 v66, v68, v42
	v_mul_f32_e32 v87, v68, v41
	v_mul_f32_e32 v88, v68, v44
	v_mul_f32_e32 v68, v68, v43
	v_fmac_f32_e32 v45, v67, v37
	v_fma_f32 v38, v67, v38, -v46
	v_fmac_f32_e32 v47, v67, v39
	v_fma_f32 v40, v67, v40, -v65
	v_fmac_f32_e32 v66, v67, v41
	v_fma_f32 v42, v67, v42, -v87
	v_fmac_f32_e32 v88, v67, v43
	v_fma_f32 v44, v67, v44, -v68
	v_sub_f32_e32 v37, v91, v45
	v_sub_f32_e32 v38, v92, v38
	v_sub_f32_e32 v39, v93, v47
	v_sub_f32_e32 v40, v94, v40
	v_sub_f32_e32 v41, v119, v66
	v_sub_f32_e32 v42, v120, v42
	v_sub_f32_e32 v43, v121, v88
	v_sub_f32_e32 v44, v122, v44
	v_fma_f32 v45, v91, 2.0, -v37
	v_fma_f32 v46, v92, 2.0, -v38
	v_fma_f32 v65, v93, 2.0, -v39
	v_fma_f32 v66, v94, 2.0, -v40
	v_fma_f32 v67, v119, 2.0, -v41
	v_fma_f32 v68, v120, 2.0, -v42
	v_fma_f32 v87, v121, 2.0, -v43
	v_fma_f32 v88, v122, 2.0, -v44
	ds_write2_b64 v100, v[45:46], v[37:38] offset1:4
	ds_write2_b64 v99, v[65:66], v[39:40] offset1:4
	ds_write2_b64 v98, v[67:68], v[41:42] offset1:4
	ds_write2_b64 v97, v[87:88], v[43:44] offset1:4
	;; [unrolled: 46-line block ×5, first 2 shown]
	s_waitcnt lgkmcnt(0)
	s_barrier
	buffer_gl0_inv
	ds_read2_b64 v[36:39], v36 offset0:64 offset1:176
	ds_read2_b64 v[40:43], v25 offset0:32 offset1:144
	ds_read2_b64 v[44:47], v90 offset1:112
	ds_read2_b64 v[65:68], v24 offset0:96 offset1:208
	s_waitcnt lgkmcnt(0)
	s_barrier
	buffer_gl0_inv
	v_mul_f32_e32 v24, v82, v37
	v_mul_f32_e32 v25, v82, v36
	;; [unrolled: 1-line block ×8, first 2 shown]
	v_fmac_f32_e32 v24, v81, v36
	v_fma_f32 v25, v81, v37, -v25
	v_fmac_f32_e32 v69, v83, v38
	v_fma_f32 v39, v83, v39, -v70
	v_fmac_f32_e32 v71, v79, v40
	v_fma_f32 v41, v79, v41, -v72
	v_fmac_f32_e32 v73, v77, v42
	v_fma_f32 v42, v77, v43, -v74
	v_sub_f32_e32 v36, v44, v24
	v_sub_f32_e32 v37, v45, v25
	;; [unrolled: 1-line block ×8, first 2 shown]
	v_fma_f32 v42, v44, 2.0, -v36
	v_fma_f32 v43, v45, 2.0, -v37
	;; [unrolled: 1-line block ×8, first 2 shown]
	ds_write2st64_b64 v118, v[42:43], v[36:37] offset1:1
	ds_write2st64_b64 v117, v[44:45], v[38:39] offset1:1
	;; [unrolled: 1-line block ×4, first 2 shown]
	s_waitcnt lgkmcnt(0)
	s_barrier
	buffer_gl0_inv
	ds_read2st64_b64 v[36:39], v90 offset1:2
	ds_read2st64_b64 v[44:47], v90 offset0:4 offset1:6
	ds_read2st64_b64 v[40:43], v90 offset0:8 offset1:10
	ds_read_b64 v[65:66], v90 offset:6144
	s_and_saveexec_b32 s0, vcc_lo
	s_cbranch_execz .LBB0_7
; %bb.6:
	v_add_nc_u32_e32 v32, 0x180, v90
	ds_read2_b64 v[24:27], v90 offset0:112 offset1:240
	ds_read2st64_b64 v[28:31], v32 offset0:5 offset1:7
	ds_read2st64_b64 v[32:35], v32 offset0:9 offset1:11
	ds_read_b64 v[85:86], v90 offset:7040
.LBB0_7:
	s_or_b32 exec_lo, exec_lo, s0
	s_waitcnt lgkmcnt(3)
	v_mul_f32_e32 v67, v21, v39
	v_mul_f32_e32 v21, v21, v38
	s_waitcnt lgkmcnt(2)
	v_mul_f32_e32 v68, v23, v45
	v_mul_f32_e32 v23, v23, v44
	v_fmac_f32_e32 v67, v20, v38
	v_fma_f32 v20, v20, v39, -v21
	v_mul_f32_e32 v21, v17, v47
	v_mul_f32_e32 v17, v17, v46
	v_fmac_f32_e32 v68, v22, v44
	v_fma_f32 v22, v22, v45, -v23
	s_waitcnt lgkmcnt(1)
	v_mul_f32_e32 v23, v13, v43
	v_fmac_f32_e32 v21, v16, v46
	v_fma_f32 v16, v16, v47, -v17
	s_waitcnt lgkmcnt(0)
	v_mul_f32_e32 v17, v15, v66
	v_mul_f32_e32 v15, v15, v65
	v_mul_f32_e32 v13, v13, v42
	v_mul_f32_e32 v38, v19, v41
	v_mul_f32_e32 v19, v19, v40
	v_fmac_f32_e32 v17, v14, v65
	v_fma_f32 v14, v14, v66, -v15
	v_fmac_f32_e32 v23, v12, v42
	v_fma_f32 v12, v12, v43, -v13
	;; [unrolled: 2-line block ×3, first 2 shown]
	v_add_f32_e32 v13, v67, v17
	v_add_f32_e32 v18, v20, v14
	v_sub_f32_e32 v14, v20, v14
	v_add_f32_e32 v19, v68, v23
	v_add_f32_e32 v20, v22, v12
	v_sub_f32_e32 v23, v68, v23
	v_sub_f32_e32 v12, v22, v12
	v_add_f32_e32 v22, v21, v38
	v_add_f32_e32 v39, v16, v15
	v_sub_f32_e32 v21, v38, v21
	;; [unrolled: 4-line block ×3, first 2 shown]
	v_sub_f32_e32 v40, v19, v13
	v_sub_f32_e32 v41, v20, v18
	v_sub_f32_e32 v42, v13, v22
	v_sub_f32_e32 v18, v18, v39
	v_sub_f32_e32 v19, v22, v19
	v_sub_f32_e32 v20, v39, v20
	v_add_f32_e32 v13, v21, v23
	v_add_f32_e32 v43, v15, v12
	v_sub_f32_e32 v44, v21, v23
	v_sub_f32_e32 v45, v15, v12
	v_add_f32_e32 v16, v22, v16
	v_add_f32_e32 v22, v39, v38
	v_sub_f32_e32 v23, v23, v17
	v_sub_f32_e32 v38, v12, v14
	;; [unrolled: 1-line block ×4, first 2 shown]
	v_add_f32_e32 v17, v13, v17
	v_add_f32_e32 v14, v43, v14
	;; [unrolled: 1-line block ×4, first 2 shown]
	v_mul_f32_e32 v36, 0x3f4a47b2, v42
	v_mul_f32_e32 v18, 0x3f4a47b2, v18
	;; [unrolled: 1-line block ×8, first 2 shown]
	v_fmamk_f32 v16, v16, 0xbf955555, v12
	v_fmamk_f32 v22, v22, 0xbf955555, v13
	;; [unrolled: 1-line block ×4, first 2 shown]
	v_fma_f32 v37, 0x3f3bfb3b, v40, -v37
	v_fma_f32 v39, 0x3f3bfb3b, v41, -v39
	;; [unrolled: 1-line block ×4, first 2 shown]
	v_fmamk_f32 v40, v21, 0xbeae86e6, v42
	v_fmamk_f32 v41, v15, 0xbeae86e6, v43
	v_fma_f32 v23, 0xbf5ff5aa, v23, -v42
	v_fma_f32 v38, 0xbf5ff5aa, v38, -v43
	;; [unrolled: 1-line block ×4, first 2 shown]
	v_add_f32_e32 v44, v19, v16
	v_add_f32_e32 v45, v20, v22
	v_fmac_f32_e32 v40, 0xbee1c552, v17
	v_fmac_f32_e32 v41, 0xbee1c552, v14
	v_add_f32_e32 v20, v37, v16
	v_add_f32_e32 v21, v39, v22
	;; [unrolled: 1-line block ×4, first 2 shown]
	v_fmac_f32_e32 v23, 0xbee1c552, v17
	v_fmac_f32_e32 v43, 0xbee1c552, v14
	;; [unrolled: 1-line block ×4, first 2 shown]
	v_add_f32_e32 v14, v41, v44
	v_sub_f32_e32 v15, v45, v40
	v_add_f32_e32 v16, v43, v36
	v_sub_f32_e32 v17, v37, v42
	v_sub_f32_e32 v18, v20, v38
	v_add_f32_e32 v19, v23, v21
	v_add_f32_e32 v20, v38, v20
	v_sub_f32_e32 v21, v21, v23
	v_sub_f32_e32 v22, v36, v43
	v_add_f32_e32 v23, v42, v37
	v_sub_f32_e32 v36, v44, v41
	v_add_f32_e32 v37, v40, v45
	ds_write2st64_b64 v90, v[12:13], v[14:15] offset1:2
	ds_write2st64_b64 v90, v[16:17], v[18:19] offset0:4 offset1:6
	ds_write2st64_b64 v90, v[20:21], v[22:23] offset0:8 offset1:10
	ds_write_b64 v90, v[36:37] offset:6144
	s_and_saveexec_b32 s0, vcc_lo
	s_cbranch_execz .LBB0_9
; %bb.8:
	v_mul_f32_e32 v12, v5, v27
	v_mul_f32_e32 v15, v7, v29
	v_mul_f32_e32 v16, v9, v35
	v_mul_f32_e32 v17, v11, v86
	v_mul_f32_e32 v11, v11, v85
	v_mul_f32_e32 v5, v5, v26
	v_mul_f32_e32 v9, v9, v34
	v_mul_f32_e32 v7, v7, v28
	v_mul_f32_e32 v13, v3, v33
	v_mul_f32_e32 v14, v1, v31
	v_fmac_f32_e32 v15, v6, v28
	v_fmac_f32_e32 v12, v4, v26
	;; [unrolled: 1-line block ×3, first 2 shown]
	v_fma_f32 v10, v10, v86, -v11
	v_fma_f32 v4, v4, v27, -v5
	v_mul_f32_e32 v1, v1, v30
	v_mul_f32_e32 v3, v3, v32
	v_fma_f32 v5, v8, v35, -v9
	v_fma_f32 v6, v6, v29, -v7
	v_fmac_f32_e32 v13, v2, v32
	v_fmac_f32_e32 v14, v0, v30
	;; [unrolled: 1-line block ×3, first 2 shown]
	v_add_f32_e32 v8, v10, v4
	v_fma_f32 v0, v0, v31, -v1
	v_fma_f32 v2, v2, v33, -v3
	v_add_f32_e32 v9, v5, v6
	v_sub_f32_e32 v19, v15, v16
	v_sub_f32_e32 v20, v12, v17
	v_add_f32_e32 v12, v17, v12
	v_add_f32_e32 v1, v0, v2
	;; [unrolled: 1-line block ×4, first 2 shown]
	v_sub_f32_e32 v18, v13, v14
	v_add_f32_e32 v13, v14, v13
	v_sub_f32_e32 v22, v8, v1
	v_add_f32_e32 v3, v1, v3
	;; [unrolled: 2-line block ×3, first 2 shown]
	v_sub_f32_e32 v2, v2, v0
	v_sub_f32_e32 v5, v6, v5
	v_add_f32_e32 v1, v25, v3
	v_sub_f32_e32 v4, v4, v10
	v_mul_f32_e32 v17, 0x3f4a47b2, v22
	v_sub_f32_e32 v23, v12, v13
	v_sub_f32_e32 v21, v18, v19
	v_fmamk_f32 v25, v3, 0xbf955555, v1
	v_add_f32_e32 v3, v13, v14
	v_sub_f32_e32 v10, v2, v5
	v_add_f32_e32 v7, v18, v19
	v_mul_f32_e32 v22, 0x3d64c772, v16
	v_fmamk_f32 v16, v16, 0x3d64c772, v17
	v_add_f32_e32 v0, v24, v3
	v_sub_f32_e32 v24, v4, v2
	v_add_f32_e32 v2, v2, v5
	v_sub_f32_e32 v5, v5, v4
	v_mul_f32_e32 v6, 0x3f4a47b2, v23
	v_sub_f32_e32 v13, v13, v15
	v_sub_f32_e32 v19, v19, v20
	;; [unrolled: 1-line block ×4, first 2 shown]
	v_mul_f32_e32 v21, 0x3f08b237, v21
	v_mul_f32_e32 v10, 0x3f08b237, v10
	v_sub_f32_e32 v9, v15, v12
	v_mul_f32_e32 v12, 0xbf5ff5aa, v5
	v_add_f32_e32 v14, v16, v25
	v_fmamk_f32 v16, v13, 0x3d64c772, v6
	v_mul_f32_e32 v13, 0x3d64c772, v13
	v_mul_f32_e32 v26, 0xbf5ff5aa, v19
	v_add_f32_e32 v2, v2, v4
	v_fma_f32 v4, 0xbf3bfb3b, v8, -v17
	v_fmamk_f32 v18, v11, 0xbeae86e6, v21
	v_add_f32_e32 v7, v7, v20
	v_fmamk_f32 v23, v3, 0xbf955555, v0
	v_fmamk_f32 v20, v24, 0xbeae86e6, v10
	v_fma_f32 v6, 0xbf3bfb3b, v9, -v6
	v_fma_f32 v12, 0x3eae86e6, v24, -v12
	v_fma_f32 v11, 0x3eae86e6, v11, -v26
	v_add_f32_e32 v15, v4, v25
	v_fma_f32 v4, 0x3f3bfb3b, v8, -v22
	v_fma_f32 v8, 0xbf5ff5aa, v19, -v21
	;; [unrolled: 1-line block ×4, first 2 shown]
	v_fmac_f32_e32 v18, 0xbee1c552, v7
	v_add_f32_e32 v16, v16, v23
	v_fmac_f32_e32 v20, 0xbee1c552, v2
	v_add_f32_e32 v6, v6, v23
	v_fmac_f32_e32 v12, 0xbee1c552, v2
	v_fmac_f32_e32 v11, 0xbee1c552, v7
	v_add_f32_e32 v9, v4, v25
	v_fmac_f32_e32 v8, 0xbee1c552, v7
	v_fmac_f32_e32 v17, 0xbee1c552, v2
	v_add_f32_e32 v2, v5, v23
	v_sub_f32_e32 v4, v6, v12
	v_add_f32_e32 v10, v12, v6
	v_sub_f32_e32 v13, v14, v18
	v_add_f32_e32 v12, v20, v16
	v_add_f32_e32 v3, v18, v14
	;; [unrolled: 1-line block ×3, first 2 shown]
	v_sub_f32_e32 v7, v9, v8
	v_add_f32_e32 v9, v8, v9
	v_sub_f32_e32 v8, v2, v17
	v_sub_f32_e32 v11, v15, v11
	v_add_nc_u32_e32 v14, 0x180, v90
	v_add_f32_e32 v6, v17, v2
	v_sub_f32_e32 v2, v16, v20
	ds_write2_b64 v90, v[0:1], v[12:13] offset0:112 offset1:240
	ds_write2st64_b64 v14, v[10:11], v[8:9] offset0:5 offset1:7
	ds_write2st64_b64 v14, v[6:7], v[4:5] offset0:9 offset1:11
	ds_write_b64 v90, v[2:3] offset:7040
.LBB0_9:
	s_or_b32 exec_lo, exec_lo, s0
	v_add_nc_u32_e32 v4, 0xc00, v90
	s_waitcnt lgkmcnt(0)
	s_barrier
	buffer_gl0_inv
	ds_read2_b64 v[0:3], v90 offset1:112
	ds_read2_b64 v[4:7], v4 offset0:64 offset1:176
	v_mad_u64_u32 v[16:17], null, s10, v48, 0
	v_mad_u64_u32 v[18:19], null, s8, v89, 0
	v_add_nc_u32_e32 v8, 0x400, v90
	v_add_nc_u32_e32 v12, 0x1400, v90
	ds_read2_b64 v[8:11], v8 offset0:96 offset1:208
	ds_read2_b64 v[12:15], v12 offset0:32 offset1:144
	v_mad_u64_u32 v[20:21], null, s11, v48, v[17:18]
	s_mov_b32 s0, 0x92492492
	s_mov_b32 s1, 0x3f524924
	s_mul_i32 s2, s9, 0xe00
	s_mul_hi_u32 s3, s8, 0xe00
	s_add_i32 s3, s3, s2
	s_waitcnt lgkmcnt(3)
	v_mul_f32_e32 v17, v50, v1
	v_mul_f32_e32 v23, v50, v0
	s_waitcnt lgkmcnt(2)
	v_mul_f32_e32 v24, v64, v5
	v_mad_u64_u32 v[21:22], null, s9, v89, v[19:20]
	v_fmac_f32_e32 v17, v49, v0
	v_fma_f32 v19, v49, v1, -v23
	v_fmac_f32_e32 v24, v63, v4
	v_mul_f32_e32 v26, v54, v3
	v_mul_f32_e32 v4, v64, v4
	v_cvt_f64_f32_e32 v[0:1], v17
	v_cvt_f64_f32_e32 v[22:23], v19
	;; [unrolled: 1-line block ×3, first 2 shown]
	v_mul_f32_e32 v27, v54, v2
	v_fmac_f32_e32 v26, v53, v2
	v_fma_f32 v2, v63, v5, -v4
	v_mov_b32_e32 v17, v20
	v_mov_b32_e32 v19, v21
	v_fma_f32 v20, v53, v3, -v27
	s_waitcnt lgkmcnt(0)
	v_mul_f32_e32 v31, v56, v13
	v_cvt_f64_f32_e32 v[2:3], v2
	v_lshlrev_b64 v[4:5], 3, v[16:17]
	v_mul_f32_e32 v30, v52, v8
	v_lshlrev_b64 v[16:17], 3, v[18:19]
	v_mul_f32_e32 v27, v62, v7
	v_mul_f32_e32 v28, v62, v6
	;; [unrolled: 1-line block ×3, first 2 shown]
	v_fmac_f32_e32 v31, v55, v12
	v_add_co_u32 v12, vcc_lo, s4, v4
	v_mul_f32_e32 v29, v52, v9
	v_mul_f32_e32 v33, v58, v11
	v_mul_f64 v[0:1], v[0:1], s[0:1]
	v_mul_f64 v[22:23], v[22:23], s[0:1]
	;; [unrolled: 1-line block ×3, first 2 shown]
	v_cvt_f64_f32_e32 v[18:19], v26
	v_fma_f32 v26, v51, v9, -v30
	v_add_co_ci_u32_e32 v30, vcc_lo, s5, v5, vcc_lo
	v_cvt_f64_f32_e32 v[20:21], v20
	v_fmac_f32_e32 v27, v61, v6
	v_fma_f32 v6, v61, v7, -v28
	v_add_co_u32 v16, vcc_lo, v12, v16
	v_fmac_f32_e32 v29, v51, v8
	v_fma_f32 v13, v55, v13, -v32
	v_fmac_f32_e32 v33, v57, v10
	v_cvt_f64_f32_e32 v[4:5], v27
	v_cvt_f64_f32_e32 v[6:7], v6
	v_mul_f64 v[2:3], v[2:3], s[0:1]
	v_add_co_ci_u32_e32 v17, vcc_lo, v30, v17, vcc_lo
	v_cvt_f64_f32_e32 v[8:9], v29
	v_cvt_f64_f32_e32 v[26:27], v26
	v_cvt_f32_f64_e32 v0, v[0:1]
	v_cvt_f32_f64_e32 v1, v[22:23]
	v_mul_f32_e32 v22, v58, v10
	v_cvt_f32_f64_e32 v12, v[24:25]
	v_mul_f32_e32 v24, v60, v15
	v_mul_f32_e32 v23, v60, v14
	v_cvt_f64_f32_e32 v[28:29], v31
	v_fma_f32 v22, v57, v11, -v22
	v_cvt_f64_f32_e32 v[10:11], v13
	v_fmac_f32_e32 v24, v59, v14
	v_fma_f32 v30, v59, v15, -v23
	v_cvt_f64_f32_e32 v[14:15], v33
	v_cvt_f64_f32_e32 v[22:23], v22
	v_mul_f64 v[18:19], v[18:19], s[0:1]
	v_cvt_f64_f32_e32 v[24:25], v24
	v_cvt_f64_f32_e32 v[30:31], v30
	v_mul_f64 v[20:21], v[20:21], s[0:1]
	v_cvt_f32_f64_e32 v13, v[2:3]
	v_mul_f64 v[2:3], v[4:5], s[0:1]
	v_mul_f64 v[4:5], v[6:7], s[0:1]
	;; [unrolled: 1-line block ×4, first 2 shown]
	s_mul_i32 s2, s8, 0xe00
	s_mul_hi_u32 s5, s8, 0xfffff580
	v_add_co_u32 v6, vcc_lo, v16, s2
	v_add_co_ci_u32_e32 v7, vcc_lo, s3, v17, vcc_lo
	v_mul_f64 v[28:29], v[28:29], s[0:1]
	s_mul_i32 s4, s9, 0xfffff580
	v_mul_f64 v[10:11], v[10:11], s[0:1]
	global_store_dwordx2 v[16:17], v[0:1], off
	v_mul_f64 v[14:15], v[14:15], s[0:1]
	v_mul_f64 v[22:23], v[22:23], s[0:1]
	v_cvt_f32_f64_e32 v18, v[18:19]
	v_mul_f64 v[24:25], v[24:25], s[0:1]
	v_mul_f64 v[30:31], v[30:31], s[0:1]
	s_sub_i32 s0, s5, s8
	s_mul_i32 s1, s8, 0xfffff580
	v_cvt_f32_f64_e32 v19, v[20:21]
	s_add_i32 s0, s0, s4
	v_add_co_u32 v20, vcc_lo, v6, s1
	v_add_co_ci_u32_e32 v21, vcc_lo, s0, v7, vcc_lo
	v_cvt_f32_f64_e32 v2, v[2:3]
	v_cvt_f32_f64_e32 v3, v[4:5]
	v_add_co_u32 v4, vcc_lo, v20, s2
	v_add_co_ci_u32_e32 v5, vcc_lo, s3, v21, vcc_lo
	v_cvt_f32_f64_e32 v8, v[8:9]
	v_cvt_f32_f64_e32 v9, v[26:27]
	;; [unrolled: 1-line block ×8, first 2 shown]
	v_add_co_u32 v22, vcc_lo, v4, s1
	v_add_co_ci_u32_e32 v23, vcc_lo, s0, v5, vcc_lo
	global_store_dwordx2 v[6:7], v[12:13], off
	v_add_co_u32 v0, vcc_lo, v22, s2
	v_add_co_ci_u32_e32 v1, vcc_lo, s3, v23, vcc_lo
	global_store_dwordx2 v[20:21], v[18:19], off
	v_add_co_u32 v6, vcc_lo, v0, s1
	v_add_co_ci_u32_e32 v7, vcc_lo, s0, v1, vcc_lo
	v_add_co_u32 v12, vcc_lo, v6, s2
	v_add_co_ci_u32_e32 v13, vcc_lo, s3, v7, vcc_lo
	global_store_dwordx2 v[4:5], v[2:3], off
	global_store_dwordx2 v[22:23], v[8:9], off
	;; [unrolled: 1-line block ×5, first 2 shown]
.LBB0_10:
	s_endpgm
	.section	.rodata,"a",@progbits
	.p2align	6, 0x0
	.amdhsa_kernel bluestein_single_back_len896_dim1_sp_op_CI_CI
		.amdhsa_group_segment_fixed_size 7168
		.amdhsa_private_segment_fixed_size 0
		.amdhsa_kernarg_size 104
		.amdhsa_user_sgpr_count 6
		.amdhsa_user_sgpr_private_segment_buffer 1
		.amdhsa_user_sgpr_dispatch_ptr 0
		.amdhsa_user_sgpr_queue_ptr 0
		.amdhsa_user_sgpr_kernarg_segment_ptr 1
		.amdhsa_user_sgpr_dispatch_id 0
		.amdhsa_user_sgpr_flat_scratch_init 0
		.amdhsa_user_sgpr_private_segment_size 0
		.amdhsa_wavefront_size32 1
		.amdhsa_uses_dynamic_stack 0
		.amdhsa_system_sgpr_private_segment_wavefront_offset 0
		.amdhsa_system_sgpr_workgroup_id_x 1
		.amdhsa_system_sgpr_workgroup_id_y 0
		.amdhsa_system_sgpr_workgroup_id_z 0
		.amdhsa_system_sgpr_workgroup_info 0
		.amdhsa_system_vgpr_workitem_id 0
		.amdhsa_next_free_vgpr 144
		.amdhsa_next_free_sgpr 20
		.amdhsa_reserve_vcc 1
		.amdhsa_reserve_flat_scratch 0
		.amdhsa_float_round_mode_32 0
		.amdhsa_float_round_mode_16_64 0
		.amdhsa_float_denorm_mode_32 3
		.amdhsa_float_denorm_mode_16_64 3
		.amdhsa_dx10_clamp 1
		.amdhsa_ieee_mode 1
		.amdhsa_fp16_overflow 0
		.amdhsa_workgroup_processor_mode 1
		.amdhsa_memory_ordered 1
		.amdhsa_forward_progress 0
		.amdhsa_shared_vgpr_count 0
		.amdhsa_exception_fp_ieee_invalid_op 0
		.amdhsa_exception_fp_denorm_src 0
		.amdhsa_exception_fp_ieee_div_zero 0
		.amdhsa_exception_fp_ieee_overflow 0
		.amdhsa_exception_fp_ieee_underflow 0
		.amdhsa_exception_fp_ieee_inexact 0
		.amdhsa_exception_int_div_zero 0
	.end_amdhsa_kernel
	.text
.Lfunc_end0:
	.size	bluestein_single_back_len896_dim1_sp_op_CI_CI, .Lfunc_end0-bluestein_single_back_len896_dim1_sp_op_CI_CI
                                        ; -- End function
	.section	.AMDGPU.csdata,"",@progbits
; Kernel info:
; codeLenInByte = 9260
; NumSgprs: 22
; NumVgprs: 144
; ScratchSize: 0
; MemoryBound: 0
; FloatMode: 240
; IeeeMode: 1
; LDSByteSize: 7168 bytes/workgroup (compile time only)
; SGPRBlocks: 2
; VGPRBlocks: 17
; NumSGPRsForWavesPerEU: 22
; NumVGPRsForWavesPerEU: 144
; Occupancy: 7
; WaveLimiterHint : 1
; COMPUTE_PGM_RSRC2:SCRATCH_EN: 0
; COMPUTE_PGM_RSRC2:USER_SGPR: 6
; COMPUTE_PGM_RSRC2:TRAP_HANDLER: 0
; COMPUTE_PGM_RSRC2:TGID_X_EN: 1
; COMPUTE_PGM_RSRC2:TGID_Y_EN: 0
; COMPUTE_PGM_RSRC2:TGID_Z_EN: 0
; COMPUTE_PGM_RSRC2:TIDIG_COMP_CNT: 0
	.text
	.p2alignl 6, 3214868480
	.fill 48, 4, 3214868480
	.type	__hip_cuid_242b27eda5bec54,@object ; @__hip_cuid_242b27eda5bec54
	.section	.bss,"aw",@nobits
	.globl	__hip_cuid_242b27eda5bec54
__hip_cuid_242b27eda5bec54:
	.byte	0                               ; 0x0
	.size	__hip_cuid_242b27eda5bec54, 1

	.ident	"AMD clang version 19.0.0git (https://github.com/RadeonOpenCompute/llvm-project roc-6.4.0 25133 c7fe45cf4b819c5991fe208aaa96edf142730f1d)"
	.section	".note.GNU-stack","",@progbits
	.addrsig
	.addrsig_sym __hip_cuid_242b27eda5bec54
	.amdgpu_metadata
---
amdhsa.kernels:
  - .args:
      - .actual_access:  read_only
        .address_space:  global
        .offset:         0
        .size:           8
        .value_kind:     global_buffer
      - .actual_access:  read_only
        .address_space:  global
        .offset:         8
        .size:           8
        .value_kind:     global_buffer
      - .actual_access:  read_only
        .address_space:  global
        .offset:         16
        .size:           8
        .value_kind:     global_buffer
      - .actual_access:  read_only
        .address_space:  global
        .offset:         24
        .size:           8
        .value_kind:     global_buffer
      - .actual_access:  read_only
        .address_space:  global
        .offset:         32
        .size:           8
        .value_kind:     global_buffer
      - .offset:         40
        .size:           8
        .value_kind:     by_value
      - .address_space:  global
        .offset:         48
        .size:           8
        .value_kind:     global_buffer
      - .address_space:  global
        .offset:         56
        .size:           8
        .value_kind:     global_buffer
      - .address_space:  global
        .offset:         64
        .size:           8
        .value_kind:     global_buffer
      - .address_space:  global
        .offset:         72
        .size:           8
        .value_kind:     global_buffer
      - .offset:         80
        .size:           4
        .value_kind:     by_value
      - .address_space:  global
        .offset:         88
        .size:           8
        .value_kind:     global_buffer
      - .address_space:  global
        .offset:         96
        .size:           8
        .value_kind:     global_buffer
    .group_segment_fixed_size: 7168
    .kernarg_segment_align: 8
    .kernarg_segment_size: 104
    .language:       OpenCL C
    .language_version:
      - 2
      - 0
    .max_flat_workgroup_size: 112
    .name:           bluestein_single_back_len896_dim1_sp_op_CI_CI
    .private_segment_fixed_size: 0
    .sgpr_count:     22
    .sgpr_spill_count: 0
    .symbol:         bluestein_single_back_len896_dim1_sp_op_CI_CI.kd
    .uniform_work_group_size: 1
    .uses_dynamic_stack: false
    .vgpr_count:     144
    .vgpr_spill_count: 0
    .wavefront_size: 32
    .workgroup_processor_mode: 1
amdhsa.target:   amdgcn-amd-amdhsa--gfx1030
amdhsa.version:
  - 1
  - 2
...

	.end_amdgpu_metadata
